;; amdgpu-corpus repo=ROCm/rocFFT kind=compiled arch=gfx1201 opt=O3
	.text
	.amdgcn_target "amdgcn-amd-amdhsa--gfx1201"
	.amdhsa_code_object_version 6
	.protected	fft_rtc_fwd_len640_factors_8_10_8_wgs_128_tpt_64_halfLds_half_op_CI_CI_unitstride_sbrr_R2C_dirReg ; -- Begin function fft_rtc_fwd_len640_factors_8_10_8_wgs_128_tpt_64_halfLds_half_op_CI_CI_unitstride_sbrr_R2C_dirReg
	.globl	fft_rtc_fwd_len640_factors_8_10_8_wgs_128_tpt_64_halfLds_half_op_CI_CI_unitstride_sbrr_R2C_dirReg
	.p2align	8
	.type	fft_rtc_fwd_len640_factors_8_10_8_wgs_128_tpt_64_halfLds_half_op_CI_CI_unitstride_sbrr_R2C_dirReg,@function
fft_rtc_fwd_len640_factors_8_10_8_wgs_128_tpt_64_halfLds_half_op_CI_CI_unitstride_sbrr_R2C_dirReg: ; @fft_rtc_fwd_len640_factors_8_10_8_wgs_128_tpt_64_halfLds_half_op_CI_CI_unitstride_sbrr_R2C_dirReg
; %bb.0:
	s_clause 0x2
	s_load_b128 s[8:11], s[0:1], 0x0
	s_load_b128 s[4:7], s[0:1], 0x58
	;; [unrolled: 1-line block ×3, first 2 shown]
	v_lshrrev_b32_e32 v1, 6, v0
	v_mov_b32_e32 v3, 0
	v_mov_b32_e32 v9, 0
	;; [unrolled: 1-line block ×3, first 2 shown]
	s_delay_alu instid0(VALU_DEP_4) | instskip(NEXT) | instid1(VALU_DEP_4)
	v_lshl_or_b32 v6, ttmp9, 1, v1
	v_mov_b32_e32 v7, v3
	s_wait_kmcnt 0x0
	v_cmp_lt_u64_e64 s2, s[10:11], 2
	s_delay_alu instid0(VALU_DEP_1)
	s_and_b32 vcc_lo, exec_lo, s2
	s_cbranch_vccnz .LBB0_8
; %bb.1:
	s_load_b64 s[2:3], s[0:1], 0x10
	v_mov_b32_e32 v9, 0
	v_mov_b32_e32 v10, 0
	s_delay_alu instid0(VALU_DEP_2)
	v_mov_b32_e32 v1, v9
	s_add_nc_u64 s[16:17], s[14:15], 8
	s_add_nc_u64 s[18:19], s[12:13], 8
	s_mov_b64 s[20:21], 1
	v_mov_b32_e32 v2, v10
	s_wait_kmcnt 0x0
	s_add_nc_u64 s[22:23], s[2:3], 8
	s_mov_b32 s3, 0
.LBB0_2:                                ; =>This Inner Loop Header: Depth=1
	s_load_b64 s[24:25], s[22:23], 0x0
	s_wait_kmcnt 0x0
	s_delay_alu instid0(VALU_DEP_1) | instskip(NEXT) | instid1(VALU_DEP_1)
	v_or_b32_e32 v4, s25, v7
	v_cmp_ne_u64_e32 vcc_lo, 0, v[3:4]
                                        ; implicit-def: $vgpr4_vgpr5
	s_and_saveexec_b32 s2, vcc_lo
	s_wait_alu 0xfffe
	s_xor_b32 s26, exec_lo, s2
	s_cbranch_execz .LBB0_4
; %bb.3:                                ;   in Loop: Header=BB0_2 Depth=1
	s_cvt_f32_u32 s2, s24
	s_cvt_f32_u32 s27, s25
	s_sub_nc_u64 s[30:31], 0, s[24:25]
	s_wait_alu 0xfffe
	s_delay_alu instid0(SALU_CYCLE_1) | instskip(SKIP_1) | instid1(SALU_CYCLE_2)
	s_fmamk_f32 s2, s27, 0x4f800000, s2
	s_wait_alu 0xfffe
	v_s_rcp_f32 s2, s2
	s_delay_alu instid0(TRANS32_DEP_1) | instskip(SKIP_1) | instid1(SALU_CYCLE_2)
	s_mul_f32 s2, s2, 0x5f7ffffc
	s_wait_alu 0xfffe
	s_mul_f32 s27, s2, 0x2f800000
	s_wait_alu 0xfffe
	s_delay_alu instid0(SALU_CYCLE_2) | instskip(SKIP_1) | instid1(SALU_CYCLE_2)
	s_trunc_f32 s27, s27
	s_wait_alu 0xfffe
	s_fmamk_f32 s2, s27, 0xcf800000, s2
	s_cvt_u32_f32 s29, s27
	s_wait_alu 0xfffe
	s_delay_alu instid0(SALU_CYCLE_1) | instskip(SKIP_1) | instid1(SALU_CYCLE_2)
	s_cvt_u32_f32 s28, s2
	s_wait_alu 0xfffe
	s_mul_u64 s[34:35], s[30:31], s[28:29]
	s_wait_alu 0xfffe
	s_mul_hi_u32 s37, s28, s35
	s_mul_i32 s36, s28, s35
	s_mul_hi_u32 s2, s28, s34
	s_mul_i32 s33, s29, s34
	s_wait_alu 0xfffe
	s_add_nc_u64 s[36:37], s[2:3], s[36:37]
	s_mul_hi_u32 s27, s29, s34
	s_mul_hi_u32 s38, s29, s35
	s_add_co_u32 s2, s36, s33
	s_wait_alu 0xfffe
	s_add_co_ci_u32 s2, s37, s27
	s_mul_i32 s34, s29, s35
	s_add_co_ci_u32 s35, s38, 0
	s_wait_alu 0xfffe
	s_add_nc_u64 s[34:35], s[2:3], s[34:35]
	s_wait_alu 0xfffe
	v_add_co_u32 v4, s2, s28, s34
	s_delay_alu instid0(VALU_DEP_1) | instskip(SKIP_1) | instid1(VALU_DEP_1)
	s_cmp_lg_u32 s2, 0
	s_add_co_ci_u32 s29, s29, s35
	v_readfirstlane_b32 s28, v4
	s_wait_alu 0xfffe
	s_delay_alu instid0(VALU_DEP_1)
	s_mul_u64 s[30:31], s[30:31], s[28:29]
	s_wait_alu 0xfffe
	s_mul_hi_u32 s35, s28, s31
	s_mul_i32 s34, s28, s31
	s_mul_hi_u32 s2, s28, s30
	s_mul_i32 s33, s29, s30
	s_wait_alu 0xfffe
	s_add_nc_u64 s[34:35], s[2:3], s[34:35]
	s_mul_hi_u32 s27, s29, s30
	s_mul_hi_u32 s28, s29, s31
	s_wait_alu 0xfffe
	s_add_co_u32 s2, s34, s33
	s_add_co_ci_u32 s2, s35, s27
	s_mul_i32 s30, s29, s31
	s_add_co_ci_u32 s31, s28, 0
	s_wait_alu 0xfffe
	s_add_nc_u64 s[30:31], s[2:3], s[30:31]
	s_wait_alu 0xfffe
	v_add_co_u32 v8, s2, v4, s30
	s_delay_alu instid0(VALU_DEP_1) | instskip(SKIP_1) | instid1(VALU_DEP_1)
	s_cmp_lg_u32 s2, 0
	s_add_co_ci_u32 s2, s29, s31
	v_mul_hi_u32 v15, v6, v8
	s_wait_alu 0xfffe
	v_mad_co_u64_u32 v[4:5], null, v6, s2, 0
	v_mad_co_u64_u32 v[11:12], null, v7, v8, 0
	;; [unrolled: 1-line block ×3, first 2 shown]
	s_delay_alu instid0(VALU_DEP_3) | instskip(SKIP_1) | instid1(VALU_DEP_4)
	v_add_co_u32 v4, vcc_lo, v15, v4
	s_wait_alu 0xfffd
	v_add_co_ci_u32_e32 v5, vcc_lo, 0, v5, vcc_lo
	s_delay_alu instid0(VALU_DEP_2) | instskip(SKIP_1) | instid1(VALU_DEP_2)
	v_add_co_u32 v4, vcc_lo, v4, v11
	s_wait_alu 0xfffd
	v_add_co_ci_u32_e32 v4, vcc_lo, v5, v12, vcc_lo
	s_wait_alu 0xfffd
	v_add_co_ci_u32_e32 v5, vcc_lo, 0, v14, vcc_lo
	s_delay_alu instid0(VALU_DEP_2) | instskip(SKIP_1) | instid1(VALU_DEP_2)
	v_add_co_u32 v8, vcc_lo, v4, v13
	s_wait_alu 0xfffd
	v_add_co_ci_u32_e32 v11, vcc_lo, 0, v5, vcc_lo
	s_delay_alu instid0(VALU_DEP_2) | instskip(SKIP_1) | instid1(VALU_DEP_3)
	v_mul_lo_u32 v12, s25, v8
	v_mad_co_u64_u32 v[4:5], null, s24, v8, 0
	v_mul_lo_u32 v13, s24, v11
	s_delay_alu instid0(VALU_DEP_2) | instskip(NEXT) | instid1(VALU_DEP_2)
	v_sub_co_u32 v4, vcc_lo, v6, v4
	v_add3_u32 v5, v5, v13, v12
	s_delay_alu instid0(VALU_DEP_1) | instskip(SKIP_1) | instid1(VALU_DEP_1)
	v_sub_nc_u32_e32 v12, v7, v5
	s_wait_alu 0xfffd
	v_subrev_co_ci_u32_e64 v12, s2, s25, v12, vcc_lo
	v_add_co_u32 v13, s2, v8, 2
	s_wait_alu 0xf1ff
	v_add_co_ci_u32_e64 v14, s2, 0, v11, s2
	v_sub_co_u32 v15, s2, v4, s24
	v_sub_co_ci_u32_e32 v5, vcc_lo, v7, v5, vcc_lo
	s_wait_alu 0xf1ff
	v_subrev_co_ci_u32_e64 v12, s2, 0, v12, s2
	s_delay_alu instid0(VALU_DEP_3) | instskip(NEXT) | instid1(VALU_DEP_3)
	v_cmp_le_u32_e32 vcc_lo, s24, v15
	v_cmp_eq_u32_e64 s2, s25, v5
	s_wait_alu 0xfffd
	v_cndmask_b32_e64 v15, 0, -1, vcc_lo
	v_cmp_le_u32_e32 vcc_lo, s25, v12
	s_wait_alu 0xfffd
	v_cndmask_b32_e64 v16, 0, -1, vcc_lo
	v_cmp_le_u32_e32 vcc_lo, s24, v4
	;; [unrolled: 3-line block ×3, first 2 shown]
	s_wait_alu 0xfffd
	v_cndmask_b32_e64 v17, 0, -1, vcc_lo
	v_cmp_eq_u32_e32 vcc_lo, s25, v12
	s_wait_alu 0xf1ff
	s_delay_alu instid0(VALU_DEP_2)
	v_cndmask_b32_e64 v4, v17, v4, s2
	s_wait_alu 0xfffd
	v_cndmask_b32_e32 v12, v16, v15, vcc_lo
	v_add_co_u32 v15, vcc_lo, v8, 1
	s_wait_alu 0xfffd
	v_add_co_ci_u32_e32 v16, vcc_lo, 0, v11, vcc_lo
	s_delay_alu instid0(VALU_DEP_3) | instskip(SKIP_1) | instid1(VALU_DEP_2)
	v_cmp_ne_u32_e32 vcc_lo, 0, v12
	s_wait_alu 0xfffd
	v_dual_cndmask_b32 v5, v16, v14 :: v_dual_cndmask_b32 v12, v15, v13
	v_cmp_ne_u32_e32 vcc_lo, 0, v4
	s_wait_alu 0xfffd
	s_delay_alu instid0(VALU_DEP_2)
	v_dual_cndmask_b32 v5, v11, v5 :: v_dual_cndmask_b32 v4, v8, v12
.LBB0_4:                                ;   in Loop: Header=BB0_2 Depth=1
	s_wait_alu 0xfffe
	s_and_not1_saveexec_b32 s2, s26
	s_cbranch_execz .LBB0_6
; %bb.5:                                ;   in Loop: Header=BB0_2 Depth=1
	v_cvt_f32_u32_e32 v4, s24
	s_sub_co_i32 s26, 0, s24
	s_delay_alu instid0(VALU_DEP_1) | instskip(NEXT) | instid1(TRANS32_DEP_1)
	v_rcp_iflag_f32_e32 v4, v4
	v_mul_f32_e32 v4, 0x4f7ffffe, v4
	s_delay_alu instid0(VALU_DEP_1) | instskip(SKIP_1) | instid1(VALU_DEP_1)
	v_cvt_u32_f32_e32 v4, v4
	s_wait_alu 0xfffe
	v_mul_lo_u32 v5, s26, v4
	s_delay_alu instid0(VALU_DEP_1) | instskip(NEXT) | instid1(VALU_DEP_1)
	v_mul_hi_u32 v5, v4, v5
	v_add_nc_u32_e32 v4, v4, v5
	s_delay_alu instid0(VALU_DEP_1) | instskip(NEXT) | instid1(VALU_DEP_1)
	v_mul_hi_u32 v4, v6, v4
	v_mul_lo_u32 v5, v4, s24
	v_add_nc_u32_e32 v8, 1, v4
	s_delay_alu instid0(VALU_DEP_2) | instskip(NEXT) | instid1(VALU_DEP_1)
	v_sub_nc_u32_e32 v5, v6, v5
	v_subrev_nc_u32_e32 v11, s24, v5
	v_cmp_le_u32_e32 vcc_lo, s24, v5
	s_wait_alu 0xfffd
	s_delay_alu instid0(VALU_DEP_2) | instskip(NEXT) | instid1(VALU_DEP_1)
	v_dual_cndmask_b32 v5, v5, v11 :: v_dual_cndmask_b32 v4, v4, v8
	v_cmp_le_u32_e32 vcc_lo, s24, v5
	s_delay_alu instid0(VALU_DEP_2) | instskip(SKIP_1) | instid1(VALU_DEP_1)
	v_dual_mov_b32 v5, v3 :: v_dual_add_nc_u32 v8, 1, v4
	s_wait_alu 0xfffd
	v_cndmask_b32_e32 v4, v4, v8, vcc_lo
.LBB0_6:                                ;   in Loop: Header=BB0_2 Depth=1
	s_wait_alu 0xfffe
	s_or_b32 exec_lo, exec_lo, s2
	v_mul_lo_u32 v8, v5, s24
	s_delay_alu instid0(VALU_DEP_2)
	v_mul_lo_u32 v13, v4, s25
	s_load_b64 s[26:27], s[18:19], 0x0
	v_mad_co_u64_u32 v[11:12], null, v4, s24, 0
	s_load_b64 s[24:25], s[16:17], 0x0
	s_add_nc_u64 s[20:21], s[20:21], 1
	s_add_nc_u64 s[16:17], s[16:17], 8
	s_wait_alu 0xfffe
	v_cmp_ge_u64_e64 s2, s[20:21], s[10:11]
	s_add_nc_u64 s[18:19], s[18:19], 8
	s_add_nc_u64 s[22:23], s[22:23], 8
	v_add3_u32 v8, v12, v13, v8
	v_sub_co_u32 v6, vcc_lo, v6, v11
	s_wait_alu 0xfffd
	s_delay_alu instid0(VALU_DEP_2) | instskip(SKIP_2) | instid1(VALU_DEP_1)
	v_sub_co_ci_u32_e32 v7, vcc_lo, v7, v8, vcc_lo
	s_and_b32 vcc_lo, exec_lo, s2
	s_wait_kmcnt 0x0
	v_mul_lo_u32 v8, s26, v7
	v_mul_lo_u32 v11, s27, v6
	v_mad_co_u64_u32 v[9:10], null, s26, v6, v[9:10]
	v_mul_lo_u32 v7, s24, v7
	v_mul_lo_u32 v12, s25, v6
	v_mad_co_u64_u32 v[1:2], null, s24, v6, v[1:2]
	s_delay_alu instid0(VALU_DEP_4) | instskip(NEXT) | instid1(VALU_DEP_2)
	v_add3_u32 v10, v11, v10, v8
	v_add3_u32 v2, v12, v2, v7
	s_wait_alu 0xfffe
	s_cbranch_vccnz .LBB0_9
; %bb.7:                                ;   in Loop: Header=BB0_2 Depth=1
	v_dual_mov_b32 v7, v5 :: v_dual_mov_b32 v6, v4
	s_branch .LBB0_2
.LBB0_8:
	v_dual_mov_b32 v1, v9 :: v_dual_mov_b32 v2, v10
	v_dual_mov_b32 v4, v6 :: v_dual_mov_b32 v5, v7
.LBB0_9:
	s_load_b64 s[2:3], s[0:1], 0x28
	v_and_b32_e32 v3, 64, v0
	s_lshl_b64 s[10:11], s[10:11], 3
                                        ; implicit-def: $vgpr8
                                        ; implicit-def: $vgpr6
	s_delay_alu instid0(VALU_DEP_1) | instskip(SKIP_4) | instid1(VALU_DEP_1)
	v_cmp_ne_u32_e64 s0, 0, v3
	v_and_b32_e32 v3, 63, v0
	s_wait_kmcnt 0x0
	v_cmp_gt_u64_e32 vcc_lo, s[2:3], v[4:5]
	v_cmp_le_u64_e64 s1, s[2:3], v[4:5]
	s_and_saveexec_b32 s2, s1
	s_wait_alu 0xfffe
	s_xor_b32 s1, exec_lo, s2
; %bb.10:
	v_and_b32_e32 v8, 63, v0
                                        ; implicit-def: $vgpr9_vgpr10
                                        ; implicit-def: $vgpr3
	s_delay_alu instid0(VALU_DEP_1)
	v_or_b32_e32 v6, 64, v8
; %bb.11:
	s_wait_alu 0xfffe
	s_or_saveexec_b32 s1, s1
	v_cndmask_b32_e64 v7, 0, 0x281, s0
	s_add_nc_u64 s[2:3], s[14:15], s[10:11]
	s_delay_alu instid0(VALU_DEP_1)
	v_lshlrev_b32_e32 v13, 2, v7
	s_wait_alu 0xfffe
	s_xor_b32 exec_lo, exec_lo, s1
	s_cbranch_execz .LBB0_13
; %bb.12:
	s_add_nc_u64 s[10:11], s[12:13], s[10:11]
	s_load_b64 s[10:11], s[10:11], 0x0
	s_wait_kmcnt 0x0
	v_mul_lo_u32 v8, s11, v4
	v_mul_lo_u32 v11, s10, v5
	v_mad_co_u64_u32 v[6:7], null, s10, v4, 0
	s_delay_alu instid0(VALU_DEP_1) | instskip(SKIP_2) | instid1(VALU_DEP_3)
	v_add3_u32 v7, v7, v11, v8
	v_lshlrev_b64_e32 v[8:9], 2, v[9:10]
	v_lshlrev_b32_e32 v10, 2, v3
	v_lshlrev_b64_e32 v[6:7], 2, v[6:7]
	s_delay_alu instid0(VALU_DEP_1) | instskip(SKIP_1) | instid1(VALU_DEP_2)
	v_add_co_u32 v6, s0, s4, v6
	s_wait_alu 0xf1ff
	v_add_co_ci_u32_e64 v7, s0, s5, v7, s0
	s_delay_alu instid0(VALU_DEP_2) | instskip(SKIP_1) | instid1(VALU_DEP_2)
	v_add_co_u32 v6, s0, v6, v8
	s_wait_alu 0xf1ff
	v_add_co_ci_u32_e64 v7, s0, v7, v9, s0
	v_mov_b32_e32 v8, v3
	s_delay_alu instid0(VALU_DEP_3) | instskip(SKIP_1) | instid1(VALU_DEP_3)
	v_add_co_u32 v6, s0, v6, v10
	s_wait_alu 0xf1ff
	v_add_co_ci_u32_e64 v7, s0, 0, v7, s0
	v_add3_u32 v10, 0, v13, v10
	s_clause 0x9
	global_load_b32 v9, v[6:7], off
	global_load_b32 v11, v[6:7], off offset:256
	global_load_b32 v12, v[6:7], off offset:512
	;; [unrolled: 1-line block ×9, first 2 shown]
	v_or_b32_e32 v6, 64, v3
	s_wait_loadcnt 0x8
	ds_store_2addr_stride64_b32 v10, v9, v11 offset1:1
	s_wait_loadcnt 0x6
	ds_store_2addr_stride64_b32 v10, v12, v14 offset0:2 offset1:3
	s_wait_loadcnt 0x4
	ds_store_2addr_stride64_b32 v10, v15, v16 offset0:4 offset1:5
	;; [unrolled: 2-line block ×4, first 2 shown]
.LBB0_13:
	s_or_b32 exec_lo, exec_lo, s1
	v_lshlrev_b32_e32 v7, 2, v8
	v_add_nc_u32_e32 v21, 0, v13
	s_load_b64 s[2:3], s[2:3], 0x0
	global_wb scope:SCOPE_SE
	s_wait_dscnt 0x0
	s_wait_kmcnt 0x0
	s_barrier_signal -1
	v_add3_u32 v23, 0, v7, v13
	s_barrier_wait -1
	global_inv scope:SCOPE_SE
	v_add_nc_u32_e32 v22, v21, v7
	v_cmp_gt_u32_e64 s0, 16, v8
	v_add_nc_u32_e32 v15, 0x400, v23
	ds_load_2addr_b32 v[10:11], v23 offset0:64 offset1:80
	v_add_nc_u32_e32 v9, 0x800, v23
	ds_load_2addr_b32 v[16:17], v23 offset0:144 offset1:160
	ds_load_2addr_b32 v[19:20], v23 offset0:224 offset1:240
	;; [unrolled: 1-line block ×6, first 2 shown]
	ds_load_b32 v9, v23 offset:2496
	ds_load_b32 v12, v22
	global_wb scope:SCOPE_SE
	s_wait_dscnt 0x0
	s_barrier_signal -1
	s_barrier_wait -1
	global_inv scope:SCOPE_SE
	v_pk_add_f16 v18, v19, v28 neg_lo:[0,1] neg_hi:[0,1]
	v_pk_add_f16 v14, v10, v26 neg_lo:[0,1] neg_hi:[0,1]
	;; [unrolled: 1-line block ×5, first 2 shown]
	v_pk_fma_f16 v19, v19, 2.0, v18 op_sel_hi:[1,0,1] neg_lo:[0,0,1] neg_hi:[0,0,1]
	v_pk_fma_f16 v10, v10, 2.0, v14 op_sel_hi:[1,0,1] neg_lo:[0,0,1] neg_hi:[0,0,1]
	;; [unrolled: 1-line block ×4, first 2 shown]
	v_lshrrev_b32_e32 v25, 16, v18
	v_lshrrev_b32_e32 v28, 16, v14
	;; [unrolled: 1-line block ×4, first 2 shown]
	v_pk_add_f16 v31, v17, v31 neg_lo:[0,1] neg_hi:[0,1]
	v_pk_fma_f16 v34, v12, 2.0, v30 op_sel_hi:[1,0,1] neg_lo:[0,0,1] neg_hi:[0,0,1]
	v_pk_add_f16 v36, v10, v19 neg_lo:[0,1] neg_hi:[0,1]
	v_sub_f16_e32 v37, v14, v25
	v_add_f16_e32 v38, v28, v18
	v_pk_add_f16 v12, v16, v24 neg_lo:[0,1] neg_hi:[0,1]
	v_sub_f16_e32 v32, v26, v32
	v_add_f16_e32 v39, v33, v9
	v_pk_fma_f16 v35, v17, 2.0, v31 op_sel_hi:[1,0,1] neg_lo:[0,0,1] neg_hi:[0,0,1]
	v_fma_f16 v19, v14, 2.0, -v37
	v_fma_f16 v18, v28, 2.0, -v38
	v_pk_fma_f16 v17, v10, 2.0, v36 op_sel_hi:[1,0,1] neg_lo:[0,0,1] neg_hi:[0,0,1]
	v_fma_f16 v14, v26, 2.0, -v32
	v_fma_f16 v33, v33, 2.0, -v39
	v_pk_add_f16 v28, v36, v12 op_sel:[0,1] op_sel_hi:[1,0]
	v_pk_add_f16 v10, v36, v12 op_sel:[0,1] op_sel_hi:[1,0] neg_lo:[0,1] neg_hi:[0,1]
	v_pk_add_f16 v27, v11, v27 neg_lo:[0,1] neg_hi:[0,1]
	v_pk_add_f16 v29, v20, v29 neg_lo:[0,1] neg_hi:[0,1]
	v_pk_fma_f16 v12, v16, 2.0, v12 op_sel_hi:[1,0,1] neg_lo:[0,0,1] neg_hi:[0,0,1]
	v_fmamk_f16 v24, v32, 0x39a8, v37
	v_fmamk_f16 v9, v14, 0xb9a8, v19
	;; [unrolled: 1-line block ×3, first 2 shown]
	v_bfi_b32 v16, 0xffff, v10, v28
	v_fmamk_f16 v26, v39, 0x39a8, v38
	v_fmac_f16_e32 v24, 0xb9a8, v39
	v_fmac_f16_e32 v9, 0xb9a8, v33
	;; [unrolled: 1-line block ×3, first 2 shown]
	v_pk_fma_f16 v14, v36, 2.0, v16 op_sel_hi:[1,0,1] neg_lo:[0,0,1] neg_hi:[0,0,1]
	v_pk_add_f16 v33, v34, v35 neg_lo:[0,1] neg_hi:[0,1]
	v_pk_fma_f16 v11, v11, 2.0, v27 op_sel_hi:[1,0,1] neg_lo:[0,0,1] neg_hi:[0,0,1]
	v_pk_fma_f16 v20, v20, 2.0, v29 op_sel_hi:[1,0,1] neg_lo:[0,0,1] neg_hi:[0,0,1]
	v_lshrrev_b32_e32 v35, 16, v31
	v_lshrrev_b32_e32 v36, 16, v30
	;; [unrolled: 1-line block ×4, first 2 shown]
	v_pk_add_f16 v20, v11, v20 neg_lo:[0,1] neg_hi:[0,1]
	v_sub_f16_e32 v35, v30, v35
	v_add_f16_e32 v31, v36, v31
	v_sub_f16_e32 v39, v27, v39
	v_add_f16_e32 v29, v40, v29
	v_pk_fma_f16 v34, v34, 2.0, v33 op_sel_hi:[1,0,1] neg_lo:[0,0,1] neg_hi:[0,0,1]
	v_fma_f16 v30, v30, 2.0, -v35
	v_fma_f16 v36, v36, 2.0, -v31
	v_pk_fma_f16 v41, v11, 2.0, v20 op_sel_hi:[1,0,1] neg_lo:[0,0,1] neg_hi:[0,0,1]
	v_fma_f16 v42, v27, 2.0, -v39
	v_fma_f16 v40, v40, 2.0, -v29
	v_fmac_f16_e32 v26, 0x39a8, v32
	v_fma_f16 v11, v37, 2.0, -v24
	v_pk_add_f16 v32, v34, v41 neg_lo:[0,1] neg_hi:[0,1]
	v_fmamk_f16 v37, v42, 0xb9a8, v30
	v_fmamk_f16 v41, v40, 0xb9a8, v36
	;; [unrolled: 1-line block ×4, first 2 shown]
	v_pk_add_f16 v12, v17, v12 neg_lo:[0,1] neg_hi:[0,1]
	v_fmac_f16_e32 v37, 0xb9a8, v40
	v_fmac_f16_e32 v41, 0x39a8, v42
	v_lshrrev_b32_e32 v40, 16, v20
	v_lshrrev_b32_e32 v42, 16, v33
	v_fmac_f16_e32 v43, 0xb9a8, v29
	v_fmac_f16_e32 v44, 0x39a8, v39
	v_fma_f16 v30, v30, 2.0, -v37
	v_sub_f16_e32 v40, v33, v40
	v_add_f16_e32 v20, v42, v20
	v_fma_f16 v29, v36, 2.0, -v41
	v_fma_f16 v35, v35, 2.0, -v43
	;; [unrolled: 1-line block ×6, first 2 shown]
	v_mad_u32_u24 v38, v8, 28, v23
	v_pk_fma_f16 v34, v34, 2.0, v32 op_sel_hi:[1,0,1] neg_lo:[0,0,1] neg_hi:[0,0,1]
	v_pack_b32_f16 v29, v30, v29
	v_pack_b32_f16 v30, v35, v31
	;; [unrolled: 1-line block ×6, first 2 shown]
	ds_store_2addr_b32 v38, v34, v29 offset1:1
	ds_store_2addr_b32 v38, v31, v30 offset0:2 offset1:3
	ds_store_2addr_b32 v38, v32, v33 offset0:4 offset1:5
	ds_store_2addr_b32 v38, v20, v35 offset0:6 offset1:7
	s_and_saveexec_b32 s1, s0
	s_cbranch_execz .LBB0_15
; %bb.14:
	v_fma_f16 v19, v19, 2.0, -v9
	v_lshlrev_b32_e32 v20, 5, v6
	v_fma_f16 v18, v18, 2.0, -v25
	v_pk_fma_f16 v17, v17, 2.0, v12 op_sel_hi:[1,0,1] neg_lo:[0,0,1] neg_hi:[0,0,1]
	v_perm_b32 v29, v25, v9, 0x5040100
	v_perm_b32 v30, v26, v24, 0x5040100
	v_add3_u32 v20, 0, v20, v13
	v_pack_b32_f16 v18, v19, v18
	v_perm_b32 v19, v27, v11, 0x5040100
	ds_store_2addr_b32 v20, v17, v18 offset1:1
	ds_store_2addr_b32 v20, v14, v19 offset0:2 offset1:3
	ds_store_2addr_b32 v20, v12, v29 offset0:4 offset1:5
	;; [unrolled: 1-line block ×3, first 2 shown]
.LBB0_15:
	s_wait_alu 0xfffe
	s_or_b32 exec_lo, exec_lo, s1
	v_and_b32_e32 v20, 7, v0
	global_wb scope:SCOPE_SE
	s_wait_dscnt 0x0
	s_barrier_signal -1
	s_barrier_wait -1
	global_inv scope:SCOPE_SE
	v_mul_u32_u24_e32 v0, 9, v20
	v_lshrrev_b32_e32 v43, 3, v8
	v_add_nc_u32_e32 v45, 0x200, v23
	v_lshrrev_b32_e32 v28, 16, v28
	s_delay_alu instid0(VALU_DEP_4) | instskip(NEXT) | instid1(VALU_DEP_4)
	v_lshlrev_b32_e32 v0, 2, v0
	v_mul_u32_u24_e32 v43, 0x50, v43
	s_clause 0x2
	global_load_b128 v[16:19], v0, s[8:9]
	global_load_b128 v[29:32], v0, s[8:9] offset:16
	global_load_b32 v41, v0, s[8:9] offset:32
	v_lshlrev_b32_e32 v0, 2, v6
	ds_load_b32 v42, v22
	ds_load_2addr_stride64_b32 v[33:34], v23 offset0:6 offset1:7
	ds_load_2addr_stride64_b32 v[35:36], v23 offset0:8 offset1:9
	;; [unrolled: 1-line block ×4, first 2 shown]
	v_or_b32_e32 v20, v43, v20
	v_add3_u32 v0, 0, v0, v13
	s_delay_alu instid0(VALU_DEP_2)
	v_lshlrev_b32_e32 v20, 2, v20
	ds_load_b32 v44, v0
	global_wb scope:SCOPE_SE
	s_wait_loadcnt_dscnt 0x0
	s_barrier_signal -1
	v_add3_u32 v20, 0, v20, v13
	s_barrier_wait -1
	global_inv scope:SCOPE_SE
	v_lshrrev_b32_e32 v43, 16, v42
	v_lshrrev_b32_e32 v46, 16, v33
	;; [unrolled: 1-line block ×19, first 2 shown]
	v_mul_f16_e32 v63, v54, v13
	v_mul_f16_e32 v54, v54, v44
	;; [unrolled: 1-line block ×18, first 2 shown]
	v_fma_f16 v44, v16, v44, -v63
	v_fmac_f16_e32 v54, v16, v13
	v_fma_f16 v13, v17, v37, -v64
	v_fmac_f16_e32 v55, v17, v50
	;; [unrolled: 2-line block ×9, first 2 shown]
	v_add_f16_e32 v32, v42, v13
	v_add_f16_e32 v33, v17, v19
	v_sub_f16_e32 v34, v55, v61
	v_sub_f16_e32 v36, v13, v17
	;; [unrolled: 1-line block ×3, first 2 shown]
	v_add_f16_e32 v38, v13, v30
	v_add_f16_e32 v41, v43, v55
	;; [unrolled: 1-line block ×3, first 2 shown]
	v_sub_f16_e32 v48, v55, v57
	v_add_f16_e32 v50, v55, v61
	v_sub_f16_e32 v51, v57, v55
	v_add_f16_e32 v53, v44, v16
	v_add_f16_e32 v55, v18, v29
	;; [unrolled: 1-line block ×5, first 2 shown]
	v_sub_f16_e32 v39, v17, v13
	v_sub_f16_e32 v40, v19, v30
	;; [unrolled: 1-line block ×7, first 2 shown]
	v_add_f16_e32 v70, v54, v56
	v_sub_f16_e32 v16, v16, v31
	v_sub_f16_e32 v72, v18, v29
	v_add_f16_e32 v17, v32, v17
	v_fma_f16 v32, -0.5, v33, v42
	v_add_f16_e32 v33, v36, v37
	v_fmac_f16_e32 v42, -0.5, v38
	v_add_f16_e32 v37, v41, v57
	v_fma_f16 v38, -0.5, v46, v43
	v_fmac_f16_e32 v43, -0.5, v50
	v_add_f16_e32 v18, v53, v18
	v_fma_f16 v41, -0.5, v55, v44
	v_fma_f16 v50, -0.5, v71, v54
	v_sub_f16_e32 v64, v58, v60
	v_fmac_f16_e32 v44, -0.5, v67
	v_fmac_f16_e32 v54, -0.5, v75
	v_sub_f16_e32 v52, v59, v61
	v_sub_f16_e32 v66, v31, v29
	;; [unrolled: 1-line block ×7, first 2 shown]
	v_add_f16_e32 v36, v39, v40
	v_add_f16_e32 v39, v48, v49
	;; [unrolled: 1-line block ×4, first 2 shown]
	v_fmamk_f16 v29, v63, 0x3b9c, v41
	v_fmamk_f16 v58, v16, 0xbb9c, v50
	v_sub_f16_e32 v35, v57, v59
	v_add_f16_e32 v37, v37, v59
	v_fmamk_f16 v57, v64, 0xbb9c, v44
	v_fmac_f16_e32 v44, 0x3b9c, v64
	v_fmamk_f16 v59, v72, 0x3b9c, v54
	v_fmac_f16_e32 v54, 0xbb9c, v72
	v_sub_f16_e32 v13, v13, v30
	v_fmac_f16_e32 v41, 0xbb9c, v63
	v_fmac_f16_e32 v50, 0x3b9c, v16
	v_add_f16_e32 v40, v51, v52
	v_add_f16_e32 v46, v65, v66
	;; [unrolled: 1-line block ×5, first 2 shown]
	v_fmamk_f16 v56, v47, 0x3b9c, v43
	v_fmac_f16_e32 v43, 0xbb9c, v47
	v_add_f16_e32 v49, v49, v60
	v_fmac_f16_e32 v29, 0x38b4, v64
	v_fmac_f16_e32 v58, 0xb8b4, v72
	v_add_f16_e32 v48, v68, v69
	v_fmamk_f16 v19, v34, 0x3b9c, v32
	v_fmac_f16_e32 v32, 0xbb9c, v34
	v_fmamk_f16 v53, v35, 0xbb9c, v42
	v_fmac_f16_e32 v42, 0x3b9c, v35
	v_fmac_f16_e32 v57, 0x38b4, v63
	;; [unrolled: 1-line block ×5, first 2 shown]
	v_fmamk_f16 v55, v13, 0xbb9c, v38
	v_fmac_f16_e32 v38, 0x3b9c, v13
	v_fmac_f16_e32 v41, 0xb8b4, v64
	;; [unrolled: 1-line block ×3, first 2 shown]
	v_add_f16_e32 v17, v17, v30
	v_add_f16_e32 v30, v37, v61
	v_fmac_f16_e32 v56, 0xb8b4, v13
	v_fmac_f16_e32 v43, 0x38b4, v13
	v_add_f16_e32 v13, v18, v31
	v_add_f16_e32 v18, v49, v62
	v_fmac_f16_e32 v29, 0x34f2, v46
	v_fmac_f16_e32 v58, 0x34f2, v51
	;; [unrolled: 1-line block ×14, first 2 shown]
	v_add_f16_e32 v16, v17, v13
	v_add_f16_e32 v31, v30, v18
	v_sub_f16_e32 v13, v17, v13
	v_sub_f16_e32 v17, v30, v18
	v_mul_f16_e32 v18, 0x38b4, v58
	v_mul_f16_e32 v35, 0xb8b4, v29
	v_fmac_f16_e32 v19, 0x34f2, v33
	v_fmac_f16_e32 v32, 0x34f2, v33
	;; [unrolled: 1-line block ×4, first 2 shown]
	v_mul_f16_e32 v30, 0x3b9c, v59
	v_mul_f16_e32 v33, 0x34f2, v44
	;; [unrolled: 1-line block ×4, first 2 shown]
	v_fmac_f16_e32 v55, 0x34f2, v39
	v_fmac_f16_e32 v38, 0x34f2, v39
	v_mul_f16_e32 v34, 0x3a79, v41
	v_mul_f16_e32 v39, 0x3a79, v50
	v_fmac_f16_e32 v18, 0x3a79, v29
	v_fmac_f16_e32 v35, 0x3a79, v58
	;; [unrolled: 1-line block ×4, first 2 shown]
	v_pack_b32_f16 v17, v13, v17
	v_fmac_f16_e32 v30, 0x34f2, v57
	v_fma_f16 v13, v54, 0x3b9c, -v33
	v_fmac_f16_e32 v36, 0x34f2, v59
	v_fma_f16 v33, v44, 0xbb9c, -v37
	v_pack_b32_f16 v16, v16, v31
	v_fma_f16 v31, v50, 0x38b4, -v34
	v_fma_f16 v34, v41, 0xb8b4, -v39
	v_add_f16_e32 v37, v19, v18
	v_add_f16_e32 v44, v55, v35
	;; [unrolled: 1-line block ×8, first 2 shown]
	v_sub_f16_e32 v18, v19, v18
	v_sub_f16_e32 v19, v53, v30
	;; [unrolled: 1-line block ×8, first 2 shown]
	v_pack_b32_f16 v33, v37, v44
	v_pack_b32_f16 v34, v39, v46
	;; [unrolled: 1-line block ×8, first 2 shown]
	ds_store_2addr_b32 v20, v16, v33 offset1:8
	ds_store_2addr_b32 v20, v34, v36 offset0:16 offset1:24
	ds_store_2addr_b32 v20, v37, v17 offset0:32 offset1:40
	;; [unrolled: 1-line block ×4, first 2 shown]
	global_wb scope:SCOPE_SE
	s_wait_dscnt 0x0
	s_barrier_signal -1
	s_barrier_wait -1
	global_inv scope:SCOPE_SE
	ds_load_2addr_b32 v[19:20], v23 offset0:80 offset1:160
	ds_load_2addr_b32 v[17:18], v45 offset0:112 offset1:192
	;; [unrolled: 1-line block ×3, first 2 shown]
	ds_load_b32 v34, v22
	ds_load_b32 v35, v23 offset:2240
	s_and_saveexec_b32 s1, s0
	s_cbranch_execz .LBB0_17
; %bb.16:
	v_add_nc_u32_e32 v9, 0x400, v23
	v_add_nc_u32_e32 v10, 0x600, v23
	ds_load_b32 v29, v0
	ds_load_b32 v24, v23 offset:2496
	ds_load_2addr_b32 v[11:12], v9 offset0:48 offset1:128
	ds_load_2addr_b32 v[9:10], v10 offset0:80 offset1:160
	;; [unrolled: 1-line block ×3, first 2 shown]
	s_wait_dscnt 0x4
	v_lshrrev_b32_e32 v30, 16, v29
	s_wait_dscnt 0x3
	v_lshrrev_b32_e32 v26, 16, v24
	;; [unrolled: 2-line block ×4, first 2 shown]
	v_lshrrev_b32_e32 v28, 16, v10
	s_wait_dscnt 0x0
	v_lshrrev_b32_e32 v31, 16, v13
.LBB0_17:
	s_wait_alu 0xfffe
	s_or_b32 exec_lo, exec_lo, s1
	v_mul_u32_u24_e32 v32, 7, v8
	s_wait_dscnt 0x0
	v_lshrrev_b32_e32 v44, 16, v35
	v_lshrrev_b32_e32 v45, 16, v16
	;; [unrolled: 1-line block ×4, first 2 shown]
	v_lshlrev_b32_e32 v32, 2, v32
	v_lshrrev_b32_e32 v48, 16, v17
	v_lshrrev_b32_e32 v49, 16, v20
	;; [unrolled: 1-line block ×4, first 2 shown]
	s_clause 0x1
	global_load_b128 v[36:39], v32, s[8:9] offset:288
	global_load_b96 v[40:42], v32, s[8:9] offset:304
	v_cmp_gt_u32_e64 s1, 0x50, v6
	v_add_nc_u32_e32 v32, 0x400, v23
	v_add_nc_u32_e32 v33, 0x600, v23
	global_wb scope:SCOPE_SE
	s_wait_loadcnt 0x0
	s_barrier_signal -1
	s_barrier_wait -1
	global_inv scope:SCOPE_SE
	v_lshrrev_b32_e32 v51, 16, v36
	v_lshrrev_b32_e32 v52, 16, v37
	;; [unrolled: 1-line block ×7, first 2 shown]
	v_mul_f16_e32 v58, v51, v50
	v_mul_f16_e32 v51, v51, v19
	;; [unrolled: 1-line block ×14, first 2 shown]
	v_fma_f16 v19, v36, v19, -v58
	v_fmac_f16_e32 v51, v36, v50
	v_fma_f16 v20, v37, v20, -v59
	v_fmac_f16_e32 v52, v37, v49
	;; [unrolled: 2-line block ×7, first 2 shown]
	v_sub_f16_e32 v18, v34, v18
	v_sub_f16_e32 v36, v43, v54
	;; [unrolled: 1-line block ×8, first 2 shown]
	v_fma_f16 v34, v34, 2.0, -v18
	v_fma_f16 v40, v43, 2.0, -v36
	;; [unrolled: 1-line block ×8, first 2 shown]
	v_sub_f16_e32 v37, v18, v37
	v_add_f16_e32 v16, v36, v16
	v_sub_f16_e32 v39, v15, v39
	v_add_f16_e32 v35, v38, v35
	v_sub_f16_e32 v20, v34, v20
	v_sub_f16_e32 v41, v40, v41
	v_fma_f16 v18, v18, 2.0, -v37
	v_fma_f16 v36, v36, 2.0, -v16
	v_sub_f16_e32 v17, v19, v17
	v_sub_f16_e32 v43, v42, v43
	v_fma_f16 v15, v15, 2.0, -v39
	v_fma_f16 v38, v38, 2.0, -v35
	v_fmamk_f16 v44, v39, 0x39a8, v37
	v_fmamk_f16 v45, v35, 0x39a8, v16
	v_fma_f16 v34, v34, 2.0, -v20
	v_fma_f16 v40, v40, 2.0, -v41
	;; [unrolled: 1-line block ×4, first 2 shown]
	v_fmamk_f16 v46, v15, 0xb9a8, v18
	v_fmamk_f16 v47, v38, 0xb9a8, v36
	v_sub_f16_e32 v43, v20, v43
	v_add_f16_e32 v17, v41, v17
	v_fmac_f16_e32 v44, 0xb9a8, v35
	v_fmac_f16_e32 v45, 0x39a8, v39
	v_sub_f16_e32 v19, v34, v19
	v_sub_f16_e32 v35, v40, v42
	v_fmac_f16_e32 v46, 0xb9a8, v38
	v_fmac_f16_e32 v47, 0x39a8, v15
	v_fma_f16 v15, v20, 2.0, -v43
	v_fma_f16 v20, v41, 2.0, -v17
	;; [unrolled: 1-line block ×8, first 2 shown]
	v_pack_b32_f16 v15, v15, v20
	v_pack_b32_f16 v16, v37, v16
	;; [unrolled: 1-line block ×8, first 2 shown]
	ds_store_2addr_b32 v23, v15, v16 offset0:160 offset1:240
	ds_store_2addr_b32 v32, v19, v20 offset0:64 offset1:144
	ds_store_2addr_b32 v23, v34, v18 offset1:80
	ds_store_2addr_b32 v33, v17, v35 offset0:96 offset1:176
	s_and_saveexec_b32 s4, s0
	s_cbranch_execz .LBB0_19
; %bb.18:
	v_dual_mov_b32 v16, 0 :: v_dual_add_nc_u32 v15, -16, v8
	s_delay_alu instid0(VALU_DEP_1) | instskip(NEXT) | instid1(VALU_DEP_1)
	v_cndmask_b32_e64 v15, v15, v6, s1
	v_mul_i32_i24_e32 v15, 7, v15
	s_delay_alu instid0(VALU_DEP_1) | instskip(NEXT) | instid1(VALU_DEP_1)
	v_lshlrev_b64_e32 v[15:16], 2, v[15:16]
	v_add_co_u32 v19, s0, s8, v15
	s_wait_alu 0xf1ff
	s_delay_alu instid0(VALU_DEP_2)
	v_add_co_ci_u32_e64 v20, s0, s9, v16, s0
	s_clause 0x1
	global_load_b128 v[15:18], v[19:20], off offset:288
	global_load_b96 v[34:36], v[19:20], off offset:304
	v_lshrrev_b32_e32 v19, 16, v12
	v_lshrrev_b32_e32 v20, 16, v14
	s_wait_loadcnt 0x1
	v_lshrrev_b32_e32 v37, 16, v15
	v_lshrrev_b32_e32 v38, 16, v16
	;; [unrolled: 1-line block ×4, first 2 shown]
	s_wait_loadcnt 0x0
	v_lshrrev_b32_e32 v41, 16, v35
	v_lshrrev_b32_e32 v42, 16, v34
	;; [unrolled: 1-line block ×3, first 2 shown]
	v_mul_f16_e32 v44, v19, v39
	v_mul_f16_e32 v45, v14, v38
	;; [unrolled: 1-line block ×14, first 2 shown]
	v_fma_f16 v12, v12, v18, -v44
	v_fmac_f16_e32 v45, v20, v16
	v_fmac_f16_e32 v46, v28, v35
	v_fma_f16 v13, v13, v15, -v47
	v_fma_f16 v9, v9, v34, -v48
	v_fmac_f16_e32 v49, v27, v17
	v_fmac_f16_e32 v50, v26, v36
	;; [unrolled: 1-line block ×4, first 2 shown]
	v_fma_f16 v11, v11, v17, -v40
	v_fma_f16 v15, v24, v36, -v43
	v_fmac_f16_e32 v39, v19, v18
	v_fma_f16 v14, v14, v16, -v38
	v_fma_f16 v10, v10, v35, -v41
	v_sub_f16_e32 v12, v29, v12
	v_sub_f16_e32 v16, v45, v46
	;; [unrolled: 1-line block ×10, first 2 shown]
	v_add_f16_e32 v25, v18, v15
	v_fma_f16 v27, v29, 2.0, -v12
	v_add_f16_e32 v26, v19, v10
	v_fma_f16 v10, v14, 2.0, -v10
	v_fma_f16 v14, v37, 2.0, -v18
	;; [unrolled: 1-line block ×7, first 2 shown]
	v_fmamk_f16 v15, v24, 0x39a8, v20
	v_sub_f16_e32 v10, v27, v10
	v_sub_f16_e32 v17, v14, v17
	;; [unrolled: 1-line block ×4, first 2 shown]
	v_fma_f16 v18, v18, 2.0, -v25
	v_fma_f16 v19, v19, 2.0, -v26
	v_fma_f16 v12, v12, 2.0, -v20
	v_fma_f16 v9, v9, 2.0, -v24
	v_fmamk_f16 v29, v25, 0x39a8, v26
	v_fmac_f16_e32 v15, 0xb9a8, v25
	v_add_f16_e32 v25, v16, v11
	v_fmamk_f16 v31, v18, 0xb9a8, v19
	v_fma_f16 v27, v27, 2.0, -v10
	v_fma_f16 v11, v13, 2.0, -v11
	v_fma_f16 v13, v28, 2.0, -v16
	v_fma_f16 v14, v14, 2.0, -v17
	v_fmamk_f16 v30, v9, 0xb9a8, v12
	v_fmac_f16_e32 v31, 0x39a8, v9
	v_sub_f16_e32 v9, v27, v11
	v_fmac_f16_e32 v29, 0x39a8, v24
	v_sub_f16_e32 v11, v13, v14
	v_sub_f16_e32 v24, v10, v17
	v_fmac_f16_e32 v30, 0xb9a8, v18
	v_fma_f16 v14, v16, 2.0, -v25
	v_fma_f16 v16, v27, 2.0, -v9
	;; [unrolled: 1-line block ×8, first 2 shown]
	v_pack_b32_f16 v13, v16, v13
	v_pack_b32_f16 v10, v10, v14
	;; [unrolled: 1-line block ×8, first 2 shown]
	ds_store_b32 v0, v13
	ds_store_2addr_b32 v23, v12, v10 offset0:144 offset1:224
	ds_store_2addr_b32 v32, v14, v9 offset0:48 offset1:128
	;; [unrolled: 1-line block ×3, first 2 shown]
	ds_store_b32 v23, v15 offset:2496
.LBB0_19:
	s_wait_alu 0xfffe
	s_or_b32 exec_lo, exec_lo, s4
	global_wb scope:SCOPE_SE
	s_wait_dscnt 0x0
	s_barrier_signal -1
	s_barrier_wait -1
	global_inv scope:SCOPE_SE
	ds_load_b32 v13, v22
	v_sub_nc_u32_e32 v0, v21, v7
	s_mov_b32 s1, exec_lo
                                        ; implicit-def: $vgpr11
                                        ; implicit-def: $vgpr10
                                        ; implicit-def: $vgpr12
	v_cmpx_ne_u32_e32 0, v8
	s_wait_alu 0xfffe
	s_xor_b32 s1, exec_lo, s1
	s_cbranch_execz .LBB0_21
; %bb.20:
	v_mov_b32_e32 v9, 0
	s_delay_alu instid0(VALU_DEP_1) | instskip(NEXT) | instid1(VALU_DEP_1)
	v_lshlrev_b64_e32 v[10:11], 2, v[8:9]
	v_add_co_u32 v10, s0, s8, v10
	s_wait_alu 0xf1ff
	s_delay_alu instid0(VALU_DEP_2)
	v_add_co_ci_u32_e64 v11, s0, s9, v11, s0
	global_load_b32 v7, v[10:11], off offset:2528
	ds_load_b32 v10, v0 offset:2560
	s_wait_dscnt 0x0
	v_pk_add_f16 v11, v13, v10 neg_lo:[0,1] neg_hi:[0,1]
	v_pk_add_f16 v10, v10, v13
	s_delay_alu instid0(VALU_DEP_1) | instskip(SKIP_1) | instid1(VALU_DEP_2)
	v_bfi_b32 v12, 0xffff, v11, v10
	v_bfi_b32 v10, 0xffff, v10, v11
	v_pk_mul_f16 v12, v12, 0.5 op_sel_hi:[1,0]
	s_delay_alu instid0(VALU_DEP_2) | instskip(SKIP_1) | instid1(VALU_DEP_2)
	v_pk_mul_f16 v13, v10, 0.5 op_sel_hi:[1,0]
	s_wait_loadcnt 0x0
	v_pk_mul_f16 v11, v7, v12 op_sel:[1,0]
	v_pk_mul_f16 v7, v7, v12 op_sel_hi:[0,1]
	s_delay_alu instid0(VALU_DEP_3) | instskip(NEXT) | instid1(VALU_DEP_3)
	v_lshrrev_b32_e32 v12, 16, v13
	v_pk_fma_f16 v10, v10, 0.5, v11 op_sel_hi:[1,0,1]
	v_lshrrev_b32_e32 v14, 16, v11
	v_sub_f16_e32 v11, v13, v11
	v_lshrrev_b32_e32 v13, 16, v7
	s_delay_alu instid0(VALU_DEP_4) | instskip(SKIP_2) | instid1(VALU_DEP_4)
	v_pk_add_f16 v15, v10, v7 op_sel:[0,1] op_sel_hi:[1,0]
	v_pk_add_f16 v16, v10, v7 op_sel:[0,1] op_sel_hi:[1,0] neg_lo:[0,1] neg_hi:[0,1]
	v_sub_f16_e32 v12, v14, v12
	v_sub_f16_e32 v10, v11, v13
                                        ; implicit-def: $vgpr13
	s_delay_alu instid0(VALU_DEP_3) | instskip(NEXT) | instid1(VALU_DEP_3)
	v_bfi_b32 v11, 0xffff, v15, v16
	v_sub_f16_e32 v12, v12, v7
.LBB0_21:
	s_wait_alu 0xfffe
	s_and_not1_saveexec_b32 s0, s1
	s_cbranch_execz .LBB0_23
; %bb.22:
	ds_load_u16 v7, v21 offset:1282
	s_wait_dscnt 0x1
	s_wait_alu 0xfffe
	v_alignbit_b32 v8, s0, v13, 16
	v_lshrrev_b32_e32 v9, 16, v13
	v_mov_b32_e32 v12, 0
	s_delay_alu instid0(VALU_DEP_3) | instskip(NEXT) | instid1(VALU_DEP_3)
	v_pk_add_f16 v8, v8, v13
	v_sub_f16_e32 v10, v13, v9
	s_delay_alu instid0(VALU_DEP_2)
	v_pack_b32_f16 v11, v8, 0
	v_mov_b32_e32 v8, 0
	v_mov_b32_e32 v9, 0
	s_wait_dscnt 0x0
	v_xor_b32_e32 v7, 0x8000, v7
	ds_store_b16 v21, v7 offset:1282
.LBB0_23:
	s_wait_alu 0xfffe
	s_or_b32 exec_lo, exec_lo, s0
	v_mov_b32_e32 v7, 0
	v_lshlrev_b64_e32 v[8:9], 2, v[8:9]
	s_wait_dscnt 0x0
	s_delay_alu instid0(VALU_DEP_2) | instskip(SKIP_1) | instid1(VALU_DEP_2)
	v_lshlrev_b64_e32 v[13:14], 2, v[6:7]
	v_lshl_add_u32 v6, v6, 2, v21
	v_add_co_u32 v13, s0, s8, v13
	s_wait_alu 0xf1ff
	s_delay_alu instid0(VALU_DEP_3)
	v_add_co_ci_u32_e64 v14, s0, s9, v14, s0
	s_add_nc_u64 s[0:1], s[8:9], 0x9e0
	s_wait_alu 0xfffe
	v_add_co_u32 v8, s0, s0, v8
	global_load_b32 v13, v[13:14], off offset:2528
	s_wait_alu 0xf1ff
	v_add_co_ci_u32_e64 v9, s0, s1, v9, s0
	s_clause 0x2
	global_load_b32 v14, v[8:9], off offset:512
	global_load_b32 v15, v[8:9], off offset:768
	;; [unrolled: 1-line block ×3, first 2 shown]
	ds_store_b16 v0, v12 offset:2562
	ds_store_b32 v22, v11
	ds_store_b16 v0, v10 offset:2560
	ds_load_b32 v9, v6
	ds_load_b32 v10, v0 offset:2304
	s_wait_dscnt 0x0
	v_pk_add_f16 v11, v9, v10 neg_lo:[0,1] neg_hi:[0,1]
	v_pk_add_f16 v9, v9, v10
	s_delay_alu instid0(VALU_DEP_1) | instskip(SKIP_1) | instid1(VALU_DEP_2)
	v_bfi_b32 v10, 0xffff, v11, v9
	v_bfi_b32 v9, 0xffff, v9, v11
	v_pk_mul_f16 v10, v10, 0.5 op_sel_hi:[1,0]
	s_delay_alu instid0(VALU_DEP_2) | instskip(SKIP_1) | instid1(VALU_DEP_1)
	v_pk_mul_f16 v9, v9, 0.5 op_sel_hi:[1,0]
	s_wait_loadcnt 0x3
	v_pk_fma_f16 v11, v13, v10, v9 op_sel:[1,0,0]
	v_pk_mul_f16 v12, v13, v10 op_sel_hi:[0,1]
	v_pk_fma_f16 v16, v13, v10, v9 op_sel:[1,0,0] neg_lo:[1,0,0] neg_hi:[1,0,0]
	v_pk_fma_f16 v9, v13, v10, v9 op_sel:[1,0,0] neg_lo:[0,0,1] neg_hi:[0,0,1]
	s_delay_alu instid0(VALU_DEP_3) | instskip(SKIP_1) | instid1(VALU_DEP_4)
	v_pk_add_f16 v10, v11, v12 op_sel:[0,1] op_sel_hi:[1,0]
	v_pk_add_f16 v11, v11, v12 op_sel:[0,1] op_sel_hi:[1,0] neg_lo:[0,1] neg_hi:[0,1]
	v_pk_add_f16 v13, v16, v12 op_sel:[0,1] op_sel_hi:[1,0] neg_lo:[0,1] neg_hi:[0,1]
	s_delay_alu instid0(VALU_DEP_4) | instskip(NEXT) | instid1(VALU_DEP_3)
	v_pk_add_f16 v9, v9, v12 op_sel:[0,1] op_sel_hi:[1,0] neg_lo:[0,1] neg_hi:[0,1]
	v_bfi_b32 v10, 0xffff, v10, v11
	s_delay_alu instid0(VALU_DEP_2)
	v_bfi_b32 v9, 0xffff, v13, v9
	ds_store_b32 v6, v10
	ds_store_b32 v0, v9 offset:2304
	ds_load_b32 v6, v22 offset:512
	ds_load_b32 v9, v0 offset:2048
	s_wait_dscnt 0x0
	v_pk_add_f16 v10, v6, v9 neg_lo:[0,1] neg_hi:[0,1]
	v_pk_add_f16 v6, v6, v9
	s_delay_alu instid0(VALU_DEP_1) | instskip(SKIP_1) | instid1(VALU_DEP_2)
	v_bfi_b32 v9, 0xffff, v10, v6
	v_bfi_b32 v6, 0xffff, v6, v10
	v_pk_mul_f16 v9, v9, 0.5 op_sel_hi:[1,0]
	s_delay_alu instid0(VALU_DEP_2) | instskip(SKIP_1) | instid1(VALU_DEP_2)
	v_pk_mul_f16 v6, v6, 0.5 op_sel_hi:[1,0]
	s_wait_loadcnt 0x2
	v_pk_mul_f16 v11, v14, v9 op_sel_hi:[0,1]
	s_delay_alu instid0(VALU_DEP_2) | instskip(SKIP_2) | instid1(VALU_DEP_3)
	v_pk_fma_f16 v10, v14, v9, v6 op_sel:[1,0,0]
	v_pk_fma_f16 v12, v14, v9, v6 op_sel:[1,0,0] neg_lo:[1,0,0] neg_hi:[1,0,0]
	v_pk_fma_f16 v6, v14, v9, v6 op_sel:[1,0,0] neg_lo:[0,0,1] neg_hi:[0,0,1]
	v_pk_add_f16 v9, v10, v11 op_sel:[0,1] op_sel_hi:[1,0]
	v_pk_add_f16 v10, v10, v11 op_sel:[0,1] op_sel_hi:[1,0] neg_lo:[0,1] neg_hi:[0,1]
	s_delay_alu instid0(VALU_DEP_4) | instskip(NEXT) | instid1(VALU_DEP_4)
	v_pk_add_f16 v12, v12, v11 op_sel:[0,1] op_sel_hi:[1,0] neg_lo:[0,1] neg_hi:[0,1]
	v_pk_add_f16 v6, v6, v11 op_sel:[0,1] op_sel_hi:[1,0] neg_lo:[0,1] neg_hi:[0,1]
	s_delay_alu instid0(VALU_DEP_3) | instskip(NEXT) | instid1(VALU_DEP_2)
	v_bfi_b32 v9, 0xffff, v9, v10
	v_bfi_b32 v6, 0xffff, v12, v6
	ds_store_b32 v22, v9 offset:512
	ds_store_b32 v0, v6 offset:2048
	ds_load_b32 v6, v22 offset:768
	ds_load_b32 v9, v0 offset:1792
	s_wait_dscnt 0x0
	v_pk_add_f16 v10, v6, v9 neg_lo:[0,1] neg_hi:[0,1]
	v_pk_add_f16 v6, v6, v9
	s_delay_alu instid0(VALU_DEP_1) | instskip(SKIP_1) | instid1(VALU_DEP_2)
	v_bfi_b32 v9, 0xffff, v10, v6
	v_bfi_b32 v6, 0xffff, v6, v10
	v_pk_mul_f16 v9, v9, 0.5 op_sel_hi:[1,0]
	s_delay_alu instid0(VALU_DEP_2) | instskip(SKIP_1) | instid1(VALU_DEP_2)
	v_pk_mul_f16 v10, v6, 0.5 op_sel_hi:[1,0]
	s_wait_loadcnt 0x1
	v_pk_mul_f16 v11, v15, v9 op_sel:[1,0]
	s_delay_alu instid0(VALU_DEP_2) | instskip(SKIP_1) | instid1(VALU_DEP_3)
	v_lshrrev_b32_e32 v12, 16, v10
	v_pk_mul_f16 v9, v15, v9 op_sel_hi:[0,1]
	v_lshrrev_b32_e32 v13, 16, v11
	v_pk_fma_f16 v6, v6, 0.5, v11 op_sel_hi:[1,0,1]
	v_sub_f16_e32 v10, v10, v11
	s_delay_alu instid0(VALU_DEP_3) | instskip(NEXT) | instid1(VALU_DEP_3)
	v_sub_f16_e32 v12, v13, v12
	v_pk_add_f16 v11, v6, v9 op_sel:[0,1] op_sel_hi:[1,0]
	v_pk_add_f16 v6, v6, v9 op_sel:[0,1] op_sel_hi:[1,0] neg_lo:[0,1] neg_hi:[0,1]
	v_lshrrev_b32_e32 v13, 16, v9
	s_delay_alu instid0(VALU_DEP_4) | instskip(NEXT) | instid1(VALU_DEP_3)
	v_sub_f16_e32 v9, v12, v9
	v_bfi_b32 v6, 0xffff, v11, v6
	s_delay_alu instid0(VALU_DEP_3)
	v_sub_f16_e32 v10, v10, v13
	ds_store_b16 v0, v9 offset:1794
	ds_store_b32 v22, v6 offset:768
	ds_store_b16 v0, v10 offset:1792
	ds_load_b32 v6, v22 offset:1024
	ds_load_b32 v9, v0 offset:1536
	s_wait_dscnt 0x0
	v_pk_add_f16 v10, v6, v9 neg_lo:[0,1] neg_hi:[0,1]
	v_pk_add_f16 v6, v6, v9
	s_delay_alu instid0(VALU_DEP_1) | instskip(SKIP_1) | instid1(VALU_DEP_2)
	v_bfi_b32 v9, 0xffff, v10, v6
	v_bfi_b32 v6, 0xffff, v6, v10
	v_pk_mul_f16 v9, v9, 0.5 op_sel_hi:[1,0]
	s_delay_alu instid0(VALU_DEP_2) | instskip(SKIP_1) | instid1(VALU_DEP_2)
	v_pk_mul_f16 v6, v6, 0.5 op_sel_hi:[1,0]
	s_wait_loadcnt 0x0
	v_pk_mul_f16 v11, v8, v9 op_sel_hi:[0,1]
	s_delay_alu instid0(VALU_DEP_2) | instskip(SKIP_2) | instid1(VALU_DEP_3)
	v_pk_fma_f16 v10, v8, v9, v6 op_sel:[1,0,0]
	v_pk_fma_f16 v12, v8, v9, v6 op_sel:[1,0,0] neg_lo:[1,0,0] neg_hi:[1,0,0]
	v_pk_fma_f16 v6, v8, v9, v6 op_sel:[1,0,0] neg_lo:[0,0,1] neg_hi:[0,0,1]
	v_pk_add_f16 v8, v10, v11 op_sel:[0,1] op_sel_hi:[1,0]
	v_pk_add_f16 v9, v10, v11 op_sel:[0,1] op_sel_hi:[1,0] neg_lo:[0,1] neg_hi:[0,1]
	s_delay_alu instid0(VALU_DEP_4) | instskip(NEXT) | instid1(VALU_DEP_4)
	v_pk_add_f16 v10, v12, v11 op_sel:[0,1] op_sel_hi:[1,0] neg_lo:[0,1] neg_hi:[0,1]
	v_pk_add_f16 v6, v6, v11 op_sel:[0,1] op_sel_hi:[1,0] neg_lo:[0,1] neg_hi:[0,1]
	s_delay_alu instid0(VALU_DEP_3) | instskip(NEXT) | instid1(VALU_DEP_2)
	v_bfi_b32 v8, 0xffff, v8, v9
	v_bfi_b32 v6, 0xffff, v10, v6
	ds_store_b32 v22, v8 offset:1024
	ds_store_b32 v0, v6 offset:1536
	global_wb scope:SCOPE_SE
	s_wait_dscnt 0x0
	s_barrier_signal -1
	s_barrier_wait -1
	global_inv scope:SCOPE_SE
	s_and_saveexec_b32 s0, vcc_lo
	s_cbranch_execz .LBB0_26
; %bb.24:
	v_mul_lo_u32 v0, s3, v4
	v_mul_lo_u32 v5, s2, v5
	v_mad_co_u64_u32 v[8:9], null, s2, v4, 0
	v_add_nc_u32_e32 v6, 64, v3
	v_mov_b32_e32 v4, v7
	s_delay_alu instid0(VALU_DEP_2) | instskip(NEXT) | instid1(VALU_DEP_4)
	v_lshlrev_b64_e32 v[12:13], 2, v[6:7]
	v_add3_u32 v9, v9, v5, v0
	v_add_nc_u32_e32 v6, 0x80, v3
	v_lshlrev_b64_e32 v[0:1], 2, v[1:2]
	v_lshlrev_b64_e32 v[10:11], 2, v[3:4]
	v_lshl_add_u32 v5, v3, 2, v21
	v_lshlrev_b64_e32 v[8:9], 2, v[8:9]
	ds_load_2addr_stride64_b32 v[22:23], v5 offset1:1
	ds_load_2addr_stride64_b32 v[24:25], v5 offset0:2 offset1:3
	ds_load_2addr_stride64_b32 v[26:27], v5 offset0:4 offset1:5
	;; [unrolled: 1-line block ×4, first 2 shown]
	v_add_co_u32 v2, vcc_lo, s6, v8
	s_wait_alu 0xfffd
	v_add_co_ci_u32_e32 v4, vcc_lo, s7, v9, vcc_lo
	v_lshlrev_b64_e32 v[8:9], 2, v[6:7]
	v_add_nc_u32_e32 v6, 0xc0, v3
	v_add_co_u32 v0, vcc_lo, v2, v0
	s_wait_alu 0xfffd
	v_add_co_ci_u32_e32 v1, vcc_lo, v4, v1, vcc_lo
	s_delay_alu instid0(VALU_DEP_3) | instskip(SKIP_4) | instid1(VALU_DEP_3)
	v_lshlrev_b64_e32 v[14:15], 2, v[6:7]
	v_add_nc_u32_e32 v6, 0x100, v3
	v_add_co_u32 v10, vcc_lo, v0, v10
	s_wait_alu 0xfffd
	v_add_co_ci_u32_e32 v11, vcc_lo, v1, v11, vcc_lo
	v_lshlrev_b64_e32 v[16:17], 2, v[6:7]
	v_add_nc_u32_e32 v6, 0x140, v3
	v_add_co_u32 v12, vcc_lo, v0, v12
	s_wait_alu 0xfffd
	v_add_co_ci_u32_e32 v13, vcc_lo, v1, v13, vcc_lo
	s_delay_alu instid0(VALU_DEP_3) | instskip(SKIP_4) | instid1(VALU_DEP_3)
	v_lshlrev_b64_e32 v[18:19], 2, v[6:7]
	v_add_nc_u32_e32 v6, 0x180, v3
	v_add_co_u32 v8, vcc_lo, v0, v8
	s_wait_alu 0xfffd
	v_add_co_ci_u32_e32 v9, vcc_lo, v1, v9, vcc_lo
	v_lshlrev_b64_e32 v[20:21], 2, v[6:7]
	v_add_nc_u32_e32 v6, 0x1c0, v3
	v_add_co_u32 v14, vcc_lo, v0, v14
	s_wait_alu 0xfffd
	v_add_co_ci_u32_e32 v15, vcc_lo, v1, v15, vcc_lo
	s_delay_alu instid0(VALU_DEP_3)
	v_lshlrev_b64_e32 v[30:31], 2, v[6:7]
	v_add_nc_u32_e32 v6, 0x200, v3
	v_add_co_u32 v16, vcc_lo, v0, v16
	s_wait_alu 0xfffd
	v_add_co_ci_u32_e32 v17, vcc_lo, v1, v17, vcc_lo
	v_add_co_u32 v18, vcc_lo, v0, v18
	v_lshlrev_b64_e32 v[34:35], 2, v[6:7]
	v_add_nc_u32_e32 v6, 0x240, v3
	s_wait_alu 0xfffd
	v_add_co_ci_u32_e32 v19, vcc_lo, v1, v19, vcc_lo
	v_add_co_u32 v20, vcc_lo, v0, v20
	s_wait_alu 0xfffd
	v_add_co_ci_u32_e32 v21, vcc_lo, v1, v21, vcc_lo
	v_add_co_u32 v30, vcc_lo, v0, v30
	v_lshlrev_b64_e32 v[6:7], 2, v[6:7]
	s_wait_alu 0xfffd
	v_add_co_ci_u32_e32 v31, vcc_lo, v1, v31, vcc_lo
	v_add_co_u32 v34, vcc_lo, v0, v34
	s_wait_alu 0xfffd
	v_add_co_ci_u32_e32 v35, vcc_lo, v1, v35, vcc_lo
	v_add_co_u32 v6, vcc_lo, v0, v6
	s_wait_alu 0xfffd
	v_add_co_ci_u32_e32 v7, vcc_lo, v1, v7, vcc_lo
	v_cmp_eq_u32_e32 vcc_lo, 63, v3
	s_wait_dscnt 0x4
	s_clause 0x1
	global_store_b32 v[10:11], v22, off
	global_store_b32 v[12:13], v23, off
	s_wait_dscnt 0x3
	s_clause 0x1
	global_store_b32 v[8:9], v24, off
	global_store_b32 v[14:15], v25, off
	;; [unrolled: 4-line block ×5, first 2 shown]
	s_and_b32 exec_lo, exec_lo, vcc_lo
	s_cbranch_execz .LBB0_26
; %bb.25:
	ds_load_b32 v2, v5 offset:2308
	s_wait_dscnt 0x0
	global_store_b32 v[0:1], v2, off offset:2560
.LBB0_26:
	s_nop 0
	s_sendmsg sendmsg(MSG_DEALLOC_VGPRS)
	s_endpgm
	.section	.rodata,"a",@progbits
	.p2align	6, 0x0
	.amdhsa_kernel fft_rtc_fwd_len640_factors_8_10_8_wgs_128_tpt_64_halfLds_half_op_CI_CI_unitstride_sbrr_R2C_dirReg
		.amdhsa_group_segment_fixed_size 0
		.amdhsa_private_segment_fixed_size 0
		.amdhsa_kernarg_size 104
		.amdhsa_user_sgpr_count 2
		.amdhsa_user_sgpr_dispatch_ptr 0
		.amdhsa_user_sgpr_queue_ptr 0
		.amdhsa_user_sgpr_kernarg_segment_ptr 1
		.amdhsa_user_sgpr_dispatch_id 0
		.amdhsa_user_sgpr_private_segment_size 0
		.amdhsa_wavefront_size32 1
		.amdhsa_uses_dynamic_stack 0
		.amdhsa_enable_private_segment 0
		.amdhsa_system_sgpr_workgroup_id_x 1
		.amdhsa_system_sgpr_workgroup_id_y 0
		.amdhsa_system_sgpr_workgroup_id_z 0
		.amdhsa_system_sgpr_workgroup_info 0
		.amdhsa_system_vgpr_workitem_id 0
		.amdhsa_next_free_vgpr 77
		.amdhsa_next_free_sgpr 39
		.amdhsa_reserve_vcc 1
		.amdhsa_float_round_mode_32 0
		.amdhsa_float_round_mode_16_64 0
		.amdhsa_float_denorm_mode_32 3
		.amdhsa_float_denorm_mode_16_64 3
		.amdhsa_fp16_overflow 0
		.amdhsa_workgroup_processor_mode 1
		.amdhsa_memory_ordered 1
		.amdhsa_forward_progress 0
		.amdhsa_round_robin_scheduling 0
		.amdhsa_exception_fp_ieee_invalid_op 0
		.amdhsa_exception_fp_denorm_src 0
		.amdhsa_exception_fp_ieee_div_zero 0
		.amdhsa_exception_fp_ieee_overflow 0
		.amdhsa_exception_fp_ieee_underflow 0
		.amdhsa_exception_fp_ieee_inexact 0
		.amdhsa_exception_int_div_zero 0
	.end_amdhsa_kernel
	.text
.Lfunc_end0:
	.size	fft_rtc_fwd_len640_factors_8_10_8_wgs_128_tpt_64_halfLds_half_op_CI_CI_unitstride_sbrr_R2C_dirReg, .Lfunc_end0-fft_rtc_fwd_len640_factors_8_10_8_wgs_128_tpt_64_halfLds_half_op_CI_CI_unitstride_sbrr_R2C_dirReg
                                        ; -- End function
	.section	.AMDGPU.csdata,"",@progbits
; Kernel info:
; codeLenInByte = 7864
; NumSgprs: 41
; NumVgprs: 77
; ScratchSize: 0
; MemoryBound: 0
; FloatMode: 240
; IeeeMode: 1
; LDSByteSize: 0 bytes/workgroup (compile time only)
; SGPRBlocks: 5
; VGPRBlocks: 9
; NumSGPRsForWavesPerEU: 41
; NumVGPRsForWavesPerEU: 77
; Occupancy: 16
; WaveLimiterHint : 1
; COMPUTE_PGM_RSRC2:SCRATCH_EN: 0
; COMPUTE_PGM_RSRC2:USER_SGPR: 2
; COMPUTE_PGM_RSRC2:TRAP_HANDLER: 0
; COMPUTE_PGM_RSRC2:TGID_X_EN: 1
; COMPUTE_PGM_RSRC2:TGID_Y_EN: 0
; COMPUTE_PGM_RSRC2:TGID_Z_EN: 0
; COMPUTE_PGM_RSRC2:TIDIG_COMP_CNT: 0
	.text
	.p2alignl 7, 3214868480
	.fill 96, 4, 3214868480
	.type	__hip_cuid_1edda16baa60e27c,@object ; @__hip_cuid_1edda16baa60e27c
	.section	.bss,"aw",@nobits
	.globl	__hip_cuid_1edda16baa60e27c
__hip_cuid_1edda16baa60e27c:
	.byte	0                               ; 0x0
	.size	__hip_cuid_1edda16baa60e27c, 1

	.ident	"AMD clang version 19.0.0git (https://github.com/RadeonOpenCompute/llvm-project roc-6.4.0 25133 c7fe45cf4b819c5991fe208aaa96edf142730f1d)"
	.section	".note.GNU-stack","",@progbits
	.addrsig
	.addrsig_sym __hip_cuid_1edda16baa60e27c
	.amdgpu_metadata
---
amdhsa.kernels:
  - .args:
      - .actual_access:  read_only
        .address_space:  global
        .offset:         0
        .size:           8
        .value_kind:     global_buffer
      - .offset:         8
        .size:           8
        .value_kind:     by_value
      - .actual_access:  read_only
        .address_space:  global
        .offset:         16
        .size:           8
        .value_kind:     global_buffer
      - .actual_access:  read_only
        .address_space:  global
        .offset:         24
        .size:           8
        .value_kind:     global_buffer
      - .actual_access:  read_only
        .address_space:  global
        .offset:         32
        .size:           8
        .value_kind:     global_buffer
      - .offset:         40
        .size:           8
        .value_kind:     by_value
      - .actual_access:  read_only
        .address_space:  global
        .offset:         48
        .size:           8
        .value_kind:     global_buffer
      - .actual_access:  read_only
        .address_space:  global
        .offset:         56
        .size:           8
        .value_kind:     global_buffer
      - .offset:         64
        .size:           4
        .value_kind:     by_value
      - .actual_access:  read_only
        .address_space:  global
        .offset:         72
        .size:           8
        .value_kind:     global_buffer
      - .actual_access:  read_only
        .address_space:  global
        .offset:         80
        .size:           8
        .value_kind:     global_buffer
      - .actual_access:  read_only
        .address_space:  global
        .offset:         88
        .size:           8
        .value_kind:     global_buffer
      - .actual_access:  write_only
        .address_space:  global
        .offset:         96
        .size:           8
        .value_kind:     global_buffer
    .group_segment_fixed_size: 0
    .kernarg_segment_align: 8
    .kernarg_segment_size: 104
    .language:       OpenCL C
    .language_version:
      - 2
      - 0
    .max_flat_workgroup_size: 128
    .name:           fft_rtc_fwd_len640_factors_8_10_8_wgs_128_tpt_64_halfLds_half_op_CI_CI_unitstride_sbrr_R2C_dirReg
    .private_segment_fixed_size: 0
    .sgpr_count:     41
    .sgpr_spill_count: 0
    .symbol:         fft_rtc_fwd_len640_factors_8_10_8_wgs_128_tpt_64_halfLds_half_op_CI_CI_unitstride_sbrr_R2C_dirReg.kd
    .uniform_work_group_size: 1
    .uses_dynamic_stack: false
    .vgpr_count:     77
    .vgpr_spill_count: 0
    .wavefront_size: 32
    .workgroup_processor_mode: 1
amdhsa.target:   amdgcn-amd-amdhsa--gfx1201
amdhsa.version:
  - 1
  - 2
...

	.end_amdgpu_metadata
